;; amdgpu-corpus repo=ROCm/rocFFT kind=compiled arch=gfx906 opt=O3
	.text
	.amdgcn_target "amdgcn-amd-amdhsa--gfx906"
	.amdhsa_code_object_version 6
	.protected	fft_rtc_fwd_len168_factors_2_7_6_2_wgs_168_tpt_14_halfLds_dim2_dp_ip_CI_sbcc_twdbase6_3step_dirReg_intrinsicReadWrite ; -- Begin function fft_rtc_fwd_len168_factors_2_7_6_2_wgs_168_tpt_14_halfLds_dim2_dp_ip_CI_sbcc_twdbase6_3step_dirReg_intrinsicReadWrite
	.globl	fft_rtc_fwd_len168_factors_2_7_6_2_wgs_168_tpt_14_halfLds_dim2_dp_ip_CI_sbcc_twdbase6_3step_dirReg_intrinsicReadWrite
	.p2align	8
	.type	fft_rtc_fwd_len168_factors_2_7_6_2_wgs_168_tpt_14_halfLds_dim2_dp_ip_CI_sbcc_twdbase6_3step_dirReg_intrinsicReadWrite,@function
fft_rtc_fwd_len168_factors_2_7_6_2_wgs_168_tpt_14_halfLds_dim2_dp_ip_CI_sbcc_twdbase6_3step_dirReg_intrinsicReadWrite: ; @fft_rtc_fwd_len168_factors_2_7_6_2_wgs_168_tpt_14_halfLds_dim2_dp_ip_CI_sbcc_twdbase6_3step_dirReg_intrinsicReadWrite
; %bb.0:
	s_load_dwordx2 s[8:9], s[4:5], 0x50
	s_load_dwordx2 s[16:17], s[4:5], 0x0
	s_load_dwordx4 s[12:15], s[4:5], 0x10
	s_movk_i32 s0, 0xc0
	v_cmp_gt_u32_e32 vcc, s0, v0
	s_and_saveexec_b64 s[2:3], vcc
	s_cbranch_execz .LBB0_3
; %bb.1:
	s_load_dwordx2 s[0:1], s[4:5], 0x8
	v_add_co_u32_e32 v1, vcc, 0xffffff58, v0
	v_lshlrev_b32_e32 v5, 4, v0
	v_addc_co_u32_e64 v2, s[4:5], 0, -1, vcc
	s_waitcnt lgkmcnt(0)
	v_mov_b32_e32 v4, s1
	v_add_co_u32_e32 v3, vcc, s0, v5
	v_add_u32_e32 v5, 0, v5
	v_addc_co_u32_e32 v4, vcc, 0, v4, vcc
	v_add_u32_e32 v5, 0x3f00, v5
	s_mov_b64 s[4:5], 0
.LBB0_2:                                ; =>This Inner Loop Header: Depth=1
	global_load_dwordx4 v[6:9], v[3:4], off
	v_add_co_u32_e32 v1, vcc, 0xa8, v1
	v_addc_co_u32_e32 v2, vcc, 0, v2, vcc
	v_cmp_lt_u64_e64 s[0:1], 23, v[1:2]
	v_add_co_u32_e32 v3, vcc, 0xa80, v3
	v_addc_co_u32_e32 v4, vcc, 0, v4, vcc
	s_or_b64 s[4:5], s[0:1], s[4:5]
	s_waitcnt vmcnt(0)
	ds_write2_b64 v5, v[6:7], v[8:9] offset1:1
	v_add_u32_e32 v5, 0xa80, v5
	s_andn2_b64 exec, exec, s[4:5]
	s_cbranch_execnz .LBB0_2
.LBB0_3:
	s_or_b64 exec, exec, s[2:3]
	s_waitcnt lgkmcnt(0)
	s_load_dwordx2 s[0:1], s[12:13], 0x8
	s_load_dwordx2 s[2:3], s[14:15], 0x0
	s_mov_b32 s7, 0
	s_waitcnt lgkmcnt(0)
	s_add_u32 s3, s0, -1
	s_addc_u32 s4, s1, -1
	s_add_u32 s5, 0, 0x55540000
	s_addc_u32 s10, 0, 0x55
	s_add_i32 s10, s10, 0x15555500
	s_mul_hi_u32 s18, s5, -12
	s_sub_i32 s18, s18, s5
	s_mul_i32 s19, s10, -12
	s_mul_i32 s11, s5, -12
	s_add_i32 s18, s18, s19
	s_mul_hi_u32 s12, s10, s11
	s_mul_i32 s13, s10, s11
	s_mul_i32 s20, s5, s18
	s_mul_hi_u32 s11, s5, s11
	s_mul_hi_u32 s19, s5, s18
	s_add_u32 s11, s11, s20
	s_addc_u32 s19, 0, s19
	s_add_u32 s11, s11, s13
	s_mul_hi_u32 s20, s10, s18
	s_addc_u32 s11, s19, s12
	s_addc_u32 s12, s20, 0
	s_mul_i32 s13, s10, s18
	s_add_u32 s11, s11, s13
	v_mov_b32_e32 v1, s11
	s_addc_u32 s12, 0, s12
	v_add_co_u32_e32 v1, vcc, s5, v1
	s_cmp_lg_u64 vcc, 0
	s_addc_u32 s5, s10, s12
	v_readfirstlane_b32 s12, v1
	s_mul_i32 s11, s3, s5
	s_mul_hi_u32 s13, s3, s12
	s_mul_hi_u32 s10, s3, s5
	s_add_u32 s11, s13, s11
	s_addc_u32 s10, 0, s10
	s_mul_hi_u32 s18, s4, s12
	s_mul_i32 s12, s4, s12
	s_add_u32 s11, s11, s12
	s_mul_hi_u32 s13, s4, s5
	s_addc_u32 s10, s10, s18
	s_addc_u32 s11, s13, 0
	s_mul_i32 s5, s4, s5
	s_add_u32 s5, s10, s5
	s_addc_u32 s10, 0, s11
	s_add_u32 s11, s5, 1
	s_addc_u32 s12, s10, 0
	s_add_u32 s13, s5, 2
	s_mul_i32 s19, s10, 12
	s_mul_hi_u32 s20, s5, 12
	s_addc_u32 s18, s10, 0
	s_add_i32 s20, s20, s19
	s_mul_i32 s19, s5, 12
	v_mov_b32_e32 v1, s19
	v_sub_co_u32_e32 v1, vcc, s3, v1
	s_cmp_lg_u64 vcc, 0
	s_subb_u32 s3, s4, s20
	v_subrev_co_u32_e32 v2, vcc, 12, v1
	s_cmp_lg_u64 vcc, 0
	s_subb_u32 s4, s3, 0
	v_readfirstlane_b32 s19, v2
	s_cmp_gt_u32 s19, 11
	s_cselect_b32 s19, -1, 0
	s_cmp_eq_u32 s4, 0
	s_cselect_b32 s4, s19, -1
	s_cmp_lg_u32 s4, 0
	s_cselect_b32 s4, s13, s11
	s_cselect_b32 s11, s18, s12
	v_readfirstlane_b32 s12, v1
	s_cmp_gt_u32 s12, 11
	s_cselect_b32 s12, -1, 0
	s_cmp_eq_u32 s3, 0
	s_cselect_b32 s3, s12, -1
	s_cmp_lg_u32 s3, 0
	s_cselect_b32 s4, s4, s5
	s_cselect_b32 s3, s11, s10
	s_add_u32 s4, s4, 1
	s_addc_u32 s5, s3, 0
	v_mov_b32_e32 v1, s4
	v_mov_b32_e32 v2, s5
	v_cmp_lt_u64_e32 vcc, s[6:7], v[1:2]
	s_mov_b64 s[10:11], 0
	s_cbranch_vccnz .LBB0_5
; %bb.4:
	v_cvt_f32_u32_e32 v1, s4
	s_sub_i32 s3, 0, s4
	v_rcp_iflag_f32_e32 v1, v1
	v_mul_f32_e32 v1, 0x4f7ffffe, v1
	v_cvt_u32_f32_e32 v1, v1
	v_readfirstlane_b32 s7, v1
	s_mul_i32 s3, s3, s7
	s_mul_hi_u32 s3, s7, s3
	s_add_i32 s7, s7, s3
	s_mul_hi_u32 s3, s6, s7
	s_mul_i32 s10, s3, s4
	s_sub_i32 s10, s6, s10
	s_add_i32 s7, s3, 1
	s_sub_i32 s11, s10, s4
	s_cmp_ge_u32 s10, s4
	s_cselect_b32 s3, s7, s3
	s_cselect_b32 s10, s11, s10
	s_add_i32 s7, s3, 1
	s_cmp_ge_u32 s10, s4
	s_cselect_b32 s10, s7, s3
.LBB0_5:
	s_mul_i32 s3, s10, s5
	s_mul_hi_u32 s5, s10, s4
	s_add_i32 s5, s5, s3
	s_mul_i32 s3, s10, s4
	s_sub_u32 s3, s6, s3
	s_subb_u32 s4, 0, s5
	s_mul_i32 s11, s4, 12
	s_load_dwordx4 s[4:7], s[14:15], 0x8
	s_waitcnt lgkmcnt(0)
	s_mov_b32 s7, 0x15555556
	v_mul_hi_u32 v70, v0, s7
	s_mul_hi_u32 s12, s3, 12
	s_mul_i32 s3, s3, 12
	s_mul_i32 s7, s3, s4
	s_mul_i32 s6, s6, s10
	s_add_i32 s5, s12, s11
	s_add_i32 s10, s6, s7
	v_mul_u32_u24_e32 v1, 12, v70
	v_sub_u32_e32 v56, v0, v1
	s_add_u32 s6, s3, 12
	v_mov_b32_e32 v1, s5
	v_add_co_u32_e32 v51, vcc, s3, v56
	s_addc_u32 s7, s5, 0
	v_mad_u64_u32 v[49:50], s[4:5], s4, v56, 0
	v_addc_co_u32_e32 v52, vcc, 0, v1, vcc
	v_mul_lo_u32 v50, s2, v70
	v_mov_b32_e32 v2, s1
	v_mov_b32_e32 v1, s0
	v_cmp_le_u64_e32 vcc, s[6:7], v[1:2]
	v_cmp_gt_u64_e64 s[0:1], s[0:1], v[51:52]
	v_add_lshl_u32 v1, v49, v50, 4
	s_or_b64 vcc, vcc, s[0:1]
	v_cndmask_b32_e32 v25, -1, v1, vcc
	v_add_u32_e32 v72, 14, v70
	v_add_u32_e32 v1, 0x62, v70
	v_mul_lo_u32 v71, s2, v72
	v_mul_lo_u32 v1, s2, v1
	v_add_u32_e32 v74, 28, v70
	v_mul_lo_u32 v73, s2, v74
	v_add_lshl_u32 v2, v49, v71, 4
	v_add_lshl_u32 v1, v49, v1, 4
	s_lshl_b32 s3, s10, 4
	s_mov_b32 s11, 0x20000
	s_mov_b32 s10, -2
	v_cndmask_b32_e32 v9, -1, v2, vcc
	v_cndmask_b32_e32 v10, -1, v1, vcc
	v_add_u32_e32 v1, 0x70, v70
	v_mul_lo_u32 v11, s2, v1
	buffer_load_dwordx4 v[1:4], v9, s[8:11], s3 offen
	buffer_load_dwordx4 v[5:8], v10, s[8:11], s3 offen
	v_add_lshl_u32 v10, v49, v73, 4
	v_cndmask_b32_e32 v17, -1, v10, vcc
	v_add_u32_e32 v10, 0x54, v70
	v_mul_lo_u32 v18, s2, v10
	v_add_lshl_u32 v9, v49, v11, 4
	v_cndmask_b32_e32 v19, -1, v9, vcc
	buffer_load_dwordx4 v[9:12], v17, s[8:11], s3 offen
	buffer_load_dwordx4 v[13:16], v19, s[8:11], s3 offen
	v_add_lshl_u32 v17, v49, v18, 4
	v_add_u32_e32 v77, 42, v70
	v_cndmask_b32_e32 v26, -1, v17, vcc
	v_add_u32_e32 v17, 0x7e, v70
	v_mul_lo_u32 v27, s2, v77
	v_mul_lo_u32 v28, s2, v17
	v_add_u32_e32 v76, 56, v70
	v_mul_lo_u32 v35, s2, v76
	buffer_load_dwordx4 v[17:20], v25, s[8:11], s3 offen
	buffer_load_dwordx4 v[21:24], v26, s[8:11], s3 offen
	v_add_lshl_u32 v25, v49, v27, 4
	v_add_lshl_u32 v26, v49, v28, 4
	v_cndmask_b32_e32 v33, -1, v25, vcc
	v_add_u32_e32 v25, 0x8c, v70
	v_cndmask_b32_e32 v34, -1, v26, vcc
	v_mul_lo_u32 v36, s2, v25
	buffer_load_dwordx4 v[25:28], v33, s[8:11], s3 offen
	buffer_load_dwordx4 v[29:32], v34, s[8:11], s3 offen
	v_add_lshl_u32 v33, v49, v35, 4
	v_add_u32_e32 v75, 0x46, v70
	v_cndmask_b32_e32 v37, -1, v33, vcc
	v_add_u32_e32 v33, 0x9a, v70
	v_mul_lo_u32 v39, s2, v75
	v_mul_lo_u32 v40, s2, v33
	v_add_lshl_u32 v34, v49, v36, 4
	v_cndmask_b32_e32 v38, -1, v34, vcc
	buffer_load_dwordx4 v[33:36], v37, s[8:11], s3 offen
	buffer_load_dwordx4 v[41:44], v38, s[8:11], s3 offen
	v_add_lshl_u32 v37, v49, v39, 4
	v_cndmask_b32_e32 v52, -1, v37, vcc
	v_add_lshl_u32 v37, v49, v40, 4
	v_cndmask_b32_e32 v53, -1, v37, vcc
	buffer_load_dwordx4 v[37:40], v52, s[8:11], s3 offen
	buffer_load_dwordx4 v[45:48], v53, s[8:11], s3 offen
	s_movk_i32 s0, 0xc0
	v_mad_u32_u24 v57, v70, s0, 0
	v_lshlrev_b32_e32 v79, 3, v56
	s_movk_i32 s0, 0xffa0
	s_waitcnt vmcnt(10)
	v_add_f64 v[52:53], v[1:2], -v[5:6]
	s_waitcnt vmcnt(8)
	v_add_f64 v[13:14], v[9:10], -v[13:14]
	v_fma_f64 v[9:10], v[9:10], 2.0, -v[13:14]
	s_waitcnt vmcnt(6)
	v_add_f64 v[54:55], v[17:18], -v[21:22]
	s_waitcnt vmcnt(4)
	v_add_f64 v[5:6], v[25:26], -v[29:30]
	v_fma_f64 v[29:30], v[1:2], 2.0, -v[52:53]
	v_add_u32_e32 v2, v57, v79
	v_add_u32_e32 v1, 0x800, v2
	;; [unrolled: 1-line block ×5, first 2 shown]
	v_fma_f64 v[25:26], v[25:26], 2.0, -v[5:6]
	s_waitcnt vmcnt(2)
	v_add_f64 v[21:22], v[33:34], -v[41:42]
	v_fma_f64 v[41:42], v[17:18], 2.0, -v[54:55]
	ds_write2_b64 v1, v[29:30], v[52:53] offset0:80 offset1:92
	v_add_u32_e32 v1, 0x1000, v2
	ds_write2_b64 v1, v[9:10], v[13:14] offset0:160 offset1:172
	ds_write2_b64 v2, v[41:42], v[54:55] offset1:12
	s_waitcnt vmcnt(0)
	v_add_f64 v[64:65], v[37:38], -v[45:46]
	v_fma_f64 v[17:18], v[33:34], 2.0, -v[21:22]
	v_add_u32_e32 v1, 0x1800, v2
	ds_write2_b64 v1, v[25:26], v[5:6] offset0:240 offset1:252
	v_add_u32_e32 v1, 0x2800, v2
	v_mad_i32_i24 v9, v70, s0, v57
	v_add_u32_e32 v78, v9, v79
	s_movk_i32 s0, 0x78
	v_fma_f64 v[29:30], v[37:38], 2.0, -v[64:65]
	ds_write2_b64 v1, v[17:18], v[21:22] offset0:64 offset1:76
	v_add_u32_e32 v1, 0x3000, v2
	v_cmp_gt_u32_e64 s[0:1], s0, v0
	v_add_u32_e32 v57, 0x1500, v2
                                        ; implicit-def: $vgpr33_vgpr34
	ds_write2_b64 v1, v[29:30], v[64:65] offset0:144 offset1:156
	s_waitcnt lgkmcnt(0)
	s_barrier
	ds_read_b64 v[62:63], v78
	ds_read_b64 v[54:55], v78 offset:2304
	ds_read_b64 v[25:26], v78 offset:4608
	;; [unrolled: 1-line block ×6, first 2 shown]
	v_lshl_add_u32 v1, v56, 3, v9
	v_add_u32_e32 v56, 0xa80, v2
                                        ; implicit-def: $vgpr9_vgpr10
	s_and_saveexec_b64 s[4:5], s[0:1]
	s_cbranch_execz .LBB0_7
; %bb.6:
	ds_read_b64 v[17:18], v78 offset:3648
	ds_read_b64 v[21:22], v78 offset:5952
	;; [unrolled: 1-line block ×7, first 2 shown]
.LBB0_7:
	s_or_b64 exec, exec, s[4:5]
	v_add_f64 v[23:24], v[19:20], -v[23:24]
	v_add_f64 v[7:8], v[3:4], -v[7:8]
	;; [unrolled: 1-line block ×6, first 2 shown]
	s_waitcnt lgkmcnt(0)
	s_barrier
	v_fma_f64 v[31:32], v[19:20], 2.0, -v[23:24]
	v_fma_f64 v[3:4], v[3:4], 2.0, -v[7:8]
	;; [unrolled: 1-line block ×6, first 2 shown]
	ds_write2_b64 v2, v[31:32], v[23:24] offset1:12
	ds_write2_b64 v56, v[3:4], v[7:8] offset1:12
	;; [unrolled: 1-line block ×6, first 2 shown]
	s_waitcnt lgkmcnt(0)
	s_barrier
	ds_read_b64 v[7:8], v78
	ds_read_b64 v[15:16], v78 offset:2304
	ds_read_b64 v[27:28], v78 offset:4608
	ds_read_b64 v[43:44], v78 offset:6912
	ds_read_b64 v[58:59], v78 offset:9216
	ds_read_b64 v[56:57], v78 offset:11520
	ds_read_b64 v[39:40], v78 offset:13824
                                        ; implicit-def: $vgpr31_vgpr32
                                        ; implicit-def: $vgpr60_vgpr61
	s_and_saveexec_b64 s[4:5], s[0:1]
	s_cbranch_execz .LBB0_9
; %bb.8:
	ds_read_b64 v[19:20], v78 offset:3648
	ds_read_b64 v[68:69], v78 offset:5952
	;; [unrolled: 1-line block ×7, first 2 shown]
.LBB0_9:
	s_or_b64 exec, exec, s[4:5]
	v_and_b32_e32 v80, 1, v70
	v_mul_u32_u24_e32 v1, 6, v80
	v_lshlrev_b32_e32 v11, 4, v1
	global_load_dwordx4 v[81:84], v11, s[16:17]
	global_load_dwordx4 v[85:88], v11, s[16:17] offset:16
	global_load_dwordx4 v[89:92], v11, s[16:17] offset:32
	;; [unrolled: 1-line block ×5, first 2 shown]
	s_mov_b32 s10, 0xe976ee23
	s_mov_b32 s14, 0x429ad128
	;; [unrolled: 1-line block ×20, first 2 shown]
	s_waitcnt vmcnt(0) lgkmcnt(0)
	s_barrier
	v_mul_f64 v[23:24], v[54:55], v[83:84]
	v_mul_f64 v[11:12], v[15:16], v[83:84]
	v_mul_f64 v[47:48], v[25:26], v[87:88]
	v_fma_f64 v[23:24], v[15:16], v[81:82], v[23:24]
	v_mul_f64 v[15:16], v[19:20], v[83:84]
	v_fma_f64 v[11:12], v[54:55], v[81:82], -v[11:12]
	v_mul_f64 v[54:55], v[68:69], v[87:88]
	v_fma_f64 v[15:16], v[17:18], v[81:82], -v[15:16]
	v_mul_f64 v[17:18], v[17:18], v[83:84]
	v_mul_f64 v[83:84], v[39:40], v[3:4]
	v_fma_f64 v[17:18], v[19:20], v[81:82], v[17:18]
	v_mul_f64 v[19:20], v[27:28], v[87:88]
	v_mul_f64 v[81:82], v[21:22], v[87:88]
	v_fma_f64 v[27:28], v[27:28], v[85:86], v[47:48]
	v_mul_f64 v[47:48], v[43:44], v[91:92]
	v_mul_f64 v[87:88], v[52:53], v[99:100]
	v_fma_f64 v[25:26], v[25:26], v[85:86], -v[19:20]
	v_fma_f64 v[19:20], v[21:22], v[85:86], -v[54:55]
	v_fma_f64 v[21:22], v[68:69], v[85:86], v[81:82]
	v_mul_f64 v[68:69], v[58:59], v[95:96]
	v_mul_f64 v[81:82], v[56:57], v[99:100]
	;; [unrolled: 1-line block ×3, first 2 shown]
	v_fma_f64 v[41:42], v[41:42], v[89:90], -v[47:48]
	v_mul_f64 v[85:86], v[45:46], v[95:96]
	v_fma_f64 v[47:48], v[37:38], v[1:2], -v[83:84]
	v_mul_f64 v[83:84], v[66:67], v[95:96]
	v_fma_f64 v[56:57], v[56:57], v[97:98], v[87:88]
	v_fma_f64 v[45:46], v[45:46], v[93:94], -v[68:69]
	v_mul_f64 v[68:69], v[37:38], v[3:4]
	v_fma_f64 v[52:53], v[52:53], v[97:98], -v[81:82]
	v_mul_f64 v[81:82], v[35:36], v[91:92]
	v_fma_f64 v[43:44], v[43:44], v[89:90], v[54:55]
	v_mul_f64 v[37:38], v[29:30], v[91:92]
	v_fma_f64 v[54:55], v[58:59], v[93:94], v[85:86]
	;; [unrolled: 2-line block ×3, first 2 shown]
	v_add_f64 v[68:69], v[11:12], v[47:48]
	v_fma_f64 v[29:30], v[29:30], v[89:90], -v[81:82]
	v_add_f64 v[81:82], v[25:26], v[52:53]
	v_fma_f64 v[35:36], v[35:36], v[89:90], v[37:38]
	v_fma_f64 v[37:38], v[64:65], v[93:94], -v[83:84]
	v_fma_f64 v[39:40], v[66:67], v[93:94], v[85:86]
	v_add_f64 v[64:65], v[41:42], v[45:46]
	v_add_f64 v[66:67], v[27:28], -v[56:57]
	v_add_f64 v[83:84], v[54:55], -v[43:44]
	;; [unrolled: 1-line block ×3, first 2 shown]
	v_add_f64 v[85:86], v[81:82], v[68:69]
	v_add_f64 v[89:90], v[81:82], -v[68:69]
	v_add_f64 v[68:69], v[68:69], -v[64:65]
	v_add_f64 v[81:82], v[64:65], -v[81:82]
	v_add_f64 v[91:92], v[83:84], -v[66:67]
	v_add_f64 v[64:65], v[64:65], v[85:86]
	v_add_f64 v[85:86], v[83:84], v[66:67]
	v_add_f64 v[66:67], v[66:67], -v[87:88]
	v_add_f64 v[83:84], v[87:88], -v[83:84]
	v_mul_f64 v[68:69], v[68:69], s[4:5]
	v_mul_f64 v[91:92], v[91:92], s[10:11]
	v_add_f64 v[93:94], v[62:63], v[64:65]
	v_add_f64 v[85:86], v[85:86], v[87:88]
	v_mul_f64 v[87:88], v[66:67], s[14:15]
	v_fma_f64 v[62:63], v[81:82], s[6:7], v[68:69]
	v_fma_f64 v[68:69], v[89:90], s[26:27], -v[68:69]
	v_fma_f64 v[66:67], v[66:67], s[14:15], -v[91:92]
	v_fma_f64 v[91:92], v[83:84], s[20:21], v[91:92]
	v_fma_f64 v[64:65], v[64:65], s[12:13], v[93:94]
	v_fma_f64 v[83:84], v[83:84], s[18:19], -v[87:88]
	v_mul_f64 v[87:88], v[81:82], s[6:7]
	v_fma_f64 v[66:67], v[85:86], s[22:23], v[66:67]
	v_add_f64 v[62:63], v[62:63], v[64:65]
	v_fma_f64 v[83:84], v[85:86], s[22:23], v[83:84]
	v_fma_f64 v[81:82], v[89:90], s[24:25], -v[87:88]
	v_fma_f64 v[87:88], v[85:86], s[22:23], v[91:92]
	v_mul_f64 v[85:86], v[60:61], v[99:100]
	v_lshrrev_b32_e32 v89, 1, v70
	v_mul_u32_u24_e32 v89, 14, v89
	v_or_b32_e32 v95, v89, v80
	v_add_f64 v[81:82], v[81:82], v[64:65]
	v_add_f64 v[64:65], v[68:69], v[64:65]
	v_mul_f64 v[68:69], v[33:34], v[99:100]
	v_fma_f64 v[33:34], v[33:34], v[97:98], -v[85:86]
	v_mul_f64 v[85:86], v[31:32], v[3:4]
	v_mul_f64 v[3:4], v[9:10], v[3:4]
	v_add_f64 v[89:90], v[81:82], -v[66:67]
	v_add_f64 v[91:92], v[83:84], v[64:65]
	v_fma_f64 v[60:61], v[60:61], v[97:98], v[68:69]
	v_add_f64 v[68:69], v[87:88], v[62:63]
	v_add_f64 v[83:84], v[64:65], -v[83:84]
	v_add_f64 v[87:88], v[62:63], -v[87:88]
	v_fma_f64 v[62:63], v[9:10], v[1:2], -v[85:86]
	v_fma_f64 v[64:65], v[31:32], v[1:2], v[3:4]
	v_add_f64 v[81:82], v[66:67], v[81:82]
	v_mul_u32_u24_e32 v1, 0x60, v95
	v_add3_u32 v67, 0, v1, v79
	v_lshrrev_b32_e32 v66, 1, v72
	ds_write2_b64 v67, v[93:94], v[68:69] offset1:24
	ds_write2_b64 v67, v[91:92], v[89:90] offset0:48 offset1:72
	ds_write2_b64 v67, v[81:82], v[83:84] offset0:96 offset1:120
	ds_write_b64 v67, v[87:88] offset:1152
	s_and_saveexec_b64 s[28:29], s[0:1]
	s_cbranch_execz .LBB0_11
; %bb.10:
	v_add_f64 v[1:2], v[19:20], v[33:34]
	v_add_f64 v[3:4], v[15:16], v[62:63]
	v_add_f64 v[9:10], v[39:40], -v[35:36]
	v_add_f64 v[31:32], v[21:22], -v[60:61]
	v_add_f64 v[68:69], v[29:30], v[37:38]
	v_add_f64 v[81:82], v[17:18], -v[64:65]
	v_add_f64 v[83:84], v[1:2], v[3:4]
	v_add_f64 v[85:86], v[9:10], -v[31:32]
	v_add_f64 v[87:88], v[3:4], -v[68:69]
	;; [unrolled: 1-line block ×4, first 2 shown]
	v_add_f64 v[31:32], v[9:10], v[31:32]
	v_add_f64 v[9:10], v[81:82], -v[9:10]
	v_add_f64 v[68:69], v[68:69], v[83:84]
	v_add_f64 v[1:2], v[1:2], -v[3:4]
	v_mul_f64 v[3:4], v[85:86], s[10:11]
	v_mul_f64 v[83:84], v[87:88], s[4:5]
	;; [unrolled: 1-line block ×4, first 2 shown]
	v_add_f64 v[31:32], v[31:32], v[81:82]
	v_add_f64 v[5:6], v[5:6], v[68:69]
	v_fma_f64 v[81:82], v[9:10], s[20:21], v[3:4]
	v_fma_f64 v[93:94], v[1:2], s[26:27], -v[83:84]
	v_fma_f64 v[9:10], v[9:10], s[18:19], -v[85:86]
	;; [unrolled: 1-line block ×4, first 2 shown]
	v_fma_f64 v[83:84], v[91:92], s[6:7], v[83:84]
	v_fma_f64 v[68:69], v[68:69], s[12:13], v[5:6]
	;; [unrolled: 1-line block ×5, first 2 shown]
	v_add_f64 v[31:32], v[93:94], v[68:69]
	v_add_f64 v[1:2], v[1:2], v[68:69]
	;; [unrolled: 1-line block ×3, first 2 shown]
	v_add_f64 v[83:84], v[31:32], -v[9:10]
	v_add_f64 v[85:86], v[1:2], -v[3:4]
	v_add_f64 v[87:88], v[81:82], v[68:69]
	v_add_f64 v[9:10], v[9:10], v[31:32]
	v_add_f64 v[1:2], v[3:4], v[1:2]
	v_add_f64 v[3:4], v[68:69], -v[81:82]
	v_mul_u32_u24_e32 v31, 14, v66
	v_or_b32_e32 v31, v31, v80
	v_mul_u32_u24_e32 v31, 0x60, v31
	v_add3_u32 v31, 0, v31, v79
	ds_write2_b64 v31, v[5:6], v[87:88] offset1:24
	ds_write2_b64 v31, v[9:10], v[85:86] offset0:48 offset1:72
	ds_write2_b64 v31, v[1:2], v[83:84] offset0:96 offset1:120
	ds_write_b64 v31, v[3:4] offset:1152
.LBB0_11:
	s_or_b64 exec, exec, s[28:29]
	v_add_f64 v[1:2], v[23:24], v[58:59]
	v_add_f64 v[3:4], v[27:28], v[56:57]
	v_add_f64 v[5:6], v[25:26], -v[52:53]
	v_add_f64 v[9:10], v[43:44], v[54:55]
	v_add_f64 v[23:24], v[45:46], -v[41:42]
	v_add_f64 v[11:12], v[11:12], -v[47:48]
	v_add_u32_e32 v48, 0x1800, v78
	v_add_u32_e32 v52, 0x2400, v78
	;; [unrolled: 1-line block ×3, first 2 shown]
	v_add_f64 v[25:26], v[3:4], v[1:2]
	s_waitcnt lgkmcnt(0)
	v_add_f64 v[27:28], v[1:2], -v[9:10]
	v_add_f64 v[31:32], v[23:24], -v[5:6]
	;; [unrolled: 1-line block ×3, first 2 shown]
	v_add_f64 v[5:6], v[23:24], v[5:6]
	v_add_f64 v[23:24], v[11:12], -v[23:24]
	v_add_f64 v[1:2], v[3:4], -v[1:2]
	v_add_f64 v[25:26], v[9:10], v[25:26]
	v_add_f64 v[9:10], v[9:10], -v[3:4]
	v_mul_f64 v[27:28], v[27:28], s[4:5]
	v_mul_f64 v[31:32], v[31:32], s[10:11]
	v_mul_f64 v[43:44], v[41:42], s[14:15]
	v_add_f64 v[5:6], v[5:6], v[11:12]
	s_barrier
	v_add_f64 v[54:55], v[7:8], v[25:26]
	v_mul_f64 v[3:4], v[9:10], s[6:7]
	v_fma_f64 v[7:8], v[9:10], s[6:7], v[27:28]
	v_fma_f64 v[9:10], v[23:24], s[20:21], v[31:32]
	v_fma_f64 v[11:12], v[41:42], s[14:15], -v[31:32]
	v_fma_f64 v[23:24], v[23:24], s[18:19], -v[43:44]
	;; [unrolled: 1-line block ×3, first 2 shown]
	v_fma_f64 v[25:26], v[25:26], s[12:13], v[54:55]
	v_fma_f64 v[1:2], v[1:2], s[24:25], -v[3:4]
	v_mul_u32_u24_e32 v3, 0x60, v74
	v_fma_f64 v[9:10], v[5:6], s[22:23], v[9:10]
	v_fma_f64 v[11:12], v[5:6], s[22:23], v[11:12]
	;; [unrolled: 1-line block ×3, first 2 shown]
	v_add3_u32 v46, 0, v3, v79
	v_add_u32_e32 v47, 0xfffffac0, v46
	v_add_f64 v[7:8], v[7:8], v[25:26]
	v_add_f64 v[23:24], v[27:28], v[25:26]
	;; [unrolled: 1-line block ×3, first 2 shown]
	ds_read2_b64 v[1:4], v48 offset0:72 offset1:240
	v_add_u32_e32 v45, 0xa80, v46
	v_add_f64 v[56:57], v[7:8], -v[9:10]
	v_add_f64 v[58:59], v[23:24], -v[5:6]
	v_add_f64 v[68:69], v[11:12], v[25:26]
	v_add_f64 v[81:82], v[25:26], -v[11:12]
	v_add_f64 v[83:84], v[5:6], v[23:24]
	v_add_f64 v[85:86], v[9:10], v[7:8]
	ds_read2_b64 v[5:8], v52 offset0:24 offset1:192
	ds_read2_b64 v[9:12], v53 offset0:40 offset1:208
	ds_read_b64 v[41:42], v46 offset:2688
	ds_read_b64 v[23:24], v47
	ds_read_b64 v[25:26], v78
	ds_read_b64 v[31:32], v78 offset:4032
	ds_read_b64 v[43:44], v46
	ds_read_b64 v[27:28], v78 offset:14784
	s_waitcnt lgkmcnt(0)
	s_barrier
	ds_write2_b64 v67, v[54:55], v[56:57] offset1:24
	ds_write2_b64 v67, v[58:59], v[68:69] offset0:48 offset1:72
	ds_write2_b64 v67, v[81:82], v[83:84] offset0:96 offset1:120
	ds_write_b64 v67, v[85:86] offset:1152
	s_and_saveexec_b64 s[4:5], s[0:1]
	s_cbranch_execz .LBB0_13
; %bb.12:
	v_add_f64 v[17:18], v[17:18], v[64:65]
	v_add_f64 v[21:22], v[21:22], v[60:61]
	v_add_f64 v[19:20], v[19:20], -v[33:34]
	v_add_f64 v[33:34], v[35:36], v[39:40]
	v_add_f64 v[29:30], v[37:38], -v[29:30]
	v_add_f64 v[15:16], v[15:16], -v[62:63]
	s_mov_b32 s0, 0x37e14327
	s_mov_b32 s1, 0x3fe948f6
	;; [unrolled: 1-line block ×3, first 2 shown]
	v_add_f64 v[35:36], v[21:22], v[17:18]
	s_mov_b32 s13, 0x3febfeb5
	v_add_f64 v[37:38], v[17:18], -v[33:34]
	v_add_f64 v[39:40], v[29:30], v[19:20]
	v_add_f64 v[54:55], v[29:30], -v[19:20]
	v_add_f64 v[19:20], v[19:20], -v[15:16]
	;; [unrolled: 1-line block ×3, first 2 shown]
	s_mov_b32 s14, 0xaaaaaaaa
	v_add_f64 v[35:36], v[33:34], v[35:36]
	v_add_f64 v[33:34], v[33:34], -v[21:22]
	v_add_f64 v[21:22], v[15:16], -v[29:30]
	v_mul_f64 v[37:38], v[37:38], s[0:1]
	v_add_f64 v[15:16], v[39:40], v[15:16]
	v_mul_f64 v[39:40], v[54:55], s[10:11]
	v_mul_f64 v[54:55], v[19:20], s[12:13]
	s_mov_b32 s1, 0x3fe77f67
	v_add_f64 v[13:14], v[13:14], v[35:36]
	v_mul_f64 v[29:30], v[33:34], s[6:7]
	s_mov_b32 s0, 0x5476071b
	s_mov_b32 s15, 0xbff2aaaa
	v_fma_f64 v[33:34], v[33:34], s[6:7], v[37:38]
	v_fma_f64 v[19:20], v[19:20], s[12:13], -v[39:40]
	v_fma_f64 v[35:36], v[35:36], s[14:15], v[13:14]
	v_fma_f64 v[29:30], v[17:18], s[0:1], -v[29:30]
	s_mov_b32 s1, 0xbfe77f67
	v_fma_f64 v[17:18], v[17:18], s[0:1], -v[37:38]
	s_mov_b32 s1, 0x3fd5d0dc
	s_mov_b32 s0, 0xb247c609
	v_fma_f64 v[37:38], v[21:22], s[0:1], v[39:40]
	s_mov_b32 s1, 0xbfd5d0dc
	v_fma_f64 v[21:22], v[21:22], s[0:1], -v[54:55]
	s_mov_b32 s0, 0x37c3f68c
	s_mov_b32 s1, 0x3fdc38aa
	v_add_f64 v[33:34], v[33:34], v[35:36]
	v_add_f64 v[29:30], v[29:30], v[35:36]
	;; [unrolled: 1-line block ×3, first 2 shown]
	v_fma_f64 v[35:36], v[15:16], s[0:1], v[37:38]
	v_fma_f64 v[21:22], v[15:16], s[0:1], v[21:22]
	;; [unrolled: 1-line block ×3, first 2 shown]
	v_add_f64 v[19:20], v[33:34], -v[35:36]
	v_add_f64 v[37:38], v[17:18], -v[21:22]
	v_add_f64 v[39:40], v[15:16], v[29:30]
	v_add_f64 v[15:16], v[29:30], -v[15:16]
	v_add_f64 v[17:18], v[21:22], v[17:18]
	v_add_f64 v[21:22], v[35:36], v[33:34]
	v_mul_u32_u24_e32 v29, 14, v66
	v_or_b32_e32 v29, v29, v80
	v_mul_u32_u24_e32 v29, 0x60, v29
	v_add3_u32 v29, 0, v29, v79
	ds_write2_b64 v29, v[13:14], v[19:20] offset1:24
	ds_write2_b64 v29, v[37:38], v[39:40] offset0:48 offset1:72
	ds_write2_b64 v29, v[15:16], v[17:18] offset0:96 offset1:120
	ds_write_b64 v29, v[21:22] offset:1152
.LBB0_13:
	s_or_b64 exec, exec, s[4:5]
	s_mov_b32 s0, 0x12492493
	v_mul_hi_u32 v13, v70, s0
	s_waitcnt lgkmcnt(0)
	s_barrier
	v_mul_u32_u24_e32 v13, 14, v13
	v_sub_u32_e32 v114, v70, v13
	v_mul_u32_u24_e32 v13, 5, v114
	v_lshlrev_b32_e32 v21, 4, v13
	global_load_dwordx4 v[13:16], v21, s[16:17] offset:208
	global_load_dwordx4 v[17:20], v21, s[16:17] offset:192
	v_mul_hi_u32 v115, v72, s0
	global_load_dwordx4 v[33:36], v21, s[16:17] offset:240
	global_load_dwordx4 v[37:40], v21, s[16:17] offset:224
	;; [unrolled: 1-line block ×3, first 2 shown]
	v_mov_b32_e32 v22, 0
	v_mov_b32_e32 v29, s17
	v_mul_u32_u24_e32 v21, 14, v115
	v_sub_u32_e32 v116, v72, v21
	v_mul_i32_i24_e32 v21, 5, v116
	v_lshlrev_b64 v[21:22], 4, v[21:22]
	s_mov_b32 s5, 0xbfebb67a
	v_add_co_u32_e64 v21, s[0:1], s16, v21
	v_addc_co_u32_e64 v22, s[0:1], v29, v22, s[0:1]
	global_load_dwordx4 v[58:61], v[21:22], off offset:192
	global_load_dwordx4 v[62:65], v[21:22], off offset:208
	;; [unrolled: 1-line block ×5, first 2 shown]
	ds_read2_b64 v[88:91], v48 offset0:72 offset1:240
	ds_read2_b64 v[92:95], v52 offset0:24 offset1:192
	;; [unrolled: 1-line block ×3, first 2 shown]
	ds_read_b64 v[21:22], v45
	ds_read_b64 v[29:30], v47
	;; [unrolled: 1-line block ×3, first 2 shown]
	ds_read_b64 v[100:101], v78 offset:4032
	ds_read_b64 v[102:103], v46
	ds_read_b64 v[104:105], v78 offset:14784
	s_mov_b32 s0, 0xe8584caa
	s_mov_b32 s1, 0x3febb67a
	;; [unrolled: 1-line block ×3, first 2 shown]
	s_waitcnt vmcnt(0) lgkmcnt(0)
	s_barrier
	s_mov_b32 s11, 0x20000
	s_mov_b32 s10, -2
	v_mul_f64 v[108:109], v[21:22], v[15:16]
	v_mul_f64 v[106:107], v[102:103], v[19:20]
	;; [unrolled: 1-line block ×8, first 2 shown]
	v_fma_f64 v[41:42], v[41:42], v[13:14], -v[108:109]
	v_fma_f64 v[43:44], v[43:44], v[17:18], -v[106:107]
	v_fma_f64 v[17:18], v[102:103], v[17:18], v[19:20]
	v_mul_f64 v[19:20], v[98:99], v[56:57]
	v_mul_f64 v[56:57], v[11:12], v[56:57]
	v_fma_f64 v[13:14], v[21:22], v[13:14], v[15:16]
	v_mul_f64 v[15:16], v[88:89], v[64:65]
	v_mul_f64 v[21:22], v[1:2], v[64:65]
	;; [unrolled: 1-line block ×3, first 2 shown]
	v_fma_f64 v[3:4], v[3:4], v[37:38], -v[110:111]
	v_fma_f64 v[37:38], v[90:91], v[37:38], v[39:40]
	v_mul_f64 v[39:40], v[5:6], v[68:69]
	v_mul_f64 v[68:69], v[96:97], v[82:83]
	v_fma_f64 v[7:8], v[7:8], v[33:34], -v[112:113]
	v_fma_f64 v[33:34], v[94:95], v[33:34], v[35:36]
	v_mul_f64 v[35:36], v[9:10], v[82:83]
	v_fma_f64 v[11:12], v[11:12], v[54:55], -v[19:20]
	v_fma_f64 v[19:20], v[98:99], v[54:55], v[56:57]
	v_mul_f64 v[102:103], v[100:101], v[60:61]
	v_mul_f64 v[60:61], v[31:32], v[60:61]
	v_fma_f64 v[9:10], v[9:10], v[80:81], -v[68:69]
	v_fma_f64 v[1:2], v[1:2], v[62:63], -v[15:16]
	v_fma_f64 v[15:16], v[88:89], v[62:63], v[21:22]
	v_fma_f64 v[35:36], v[96:97], v[80:81], v[35:36]
	v_add_f64 v[80:81], v[17:18], v[37:38]
	v_add_f64 v[68:69], v[37:38], -v[19:20]
	v_add_f64 v[37:38], v[37:38], v[19:20]
	v_fma_f64 v[5:6], v[5:6], v[66:67], -v[64:65]
	v_fma_f64 v[21:22], v[92:93], v[66:67], v[39:40]
	v_add_f64 v[66:67], v[3:4], v[11:12]
	v_mul_f64 v[54:55], v[27:28], v[86:87]
	v_mul_f64 v[82:83], v[104:105], v[86:87]
	v_fma_f64 v[31:32], v[31:32], v[58:59], -v[102:103]
	v_fma_f64 v[56:57], v[100:101], v[58:59], v[60:61]
	v_add_f64 v[58:59], v[41:42], v[7:8]
	v_add_f64 v[60:61], v[13:14], -v[33:34]
	v_add_f64 v[62:63], v[52:53], v[13:14]
	v_add_f64 v[13:14], v[13:14], v[33:34]
	;; [unrolled: 1-line block ×3, first 2 shown]
	v_add_f64 v[3:4], v[3:4], -v[11:12]
	v_fma_f64 v[17:18], v[37:38], -0.5, v[17:18]
	v_fma_f64 v[37:38], v[66:67], -0.5, v[43:44]
	v_fma_f64 v[39:40], v[104:105], v[84:85], v[54:55]
	v_fma_f64 v[27:28], v[27:28], v[84:85], -v[82:83]
	v_add_f64 v[54:55], v[25:26], v[41:42]
	v_add_f64 v[41:42], v[41:42], -v[7:8]
	v_fma_f64 v[25:26], v[58:59], -0.5, v[25:26]
	v_fma_f64 v[13:14], v[13:14], -0.5, v[52:53]
	v_fma_f64 v[58:59], v[3:4], s[4:5], v[17:18]
	v_add_f64 v[33:34], v[62:63], v[33:34]
	v_fma_f64 v[62:63], v[68:69], s[4:5], v[37:38]
	v_add_f64 v[94:95], v[21:22], v[39:40]
	;; [unrolled: 2-line block ×4, first 2 shown]
	v_add_f64 v[11:12], v[64:65], v[11:12]
	v_fma_f64 v[17:18], v[60:61], s[0:1], v[25:26]
	v_fma_f64 v[25:26], v[60:61], s[4:5], v[25:26]
	;; [unrolled: 1-line block ×4, first 2 shown]
	v_mul_f64 v[41:42], v[58:59], s[0:1]
	v_mul_f64 v[64:65], v[62:63], -0.5
	v_add_f64 v[96:97], v[5:6], -v[27:28]
	v_fma_f64 v[54:55], v[94:95], -0.5, v[56:57]
	v_mul_f64 v[68:69], v[3:4], -0.5
	v_add_f64 v[82:83], v[23:24], v[1:2]
	v_add_f64 v[92:93], v[21:22], -v[39:40]
	v_add_f64 v[19:20], v[80:81], v[19:20]
	v_fma_f64 v[52:53], v[90:91], -0.5, v[31:32]
	v_mul_f64 v[66:67], v[37:38], s[4:5]
	v_add_f64 v[80:81], v[7:8], v[11:12]
	v_add_f64 v[7:8], v[7:8], -v[11:12]
	v_fma_f64 v[11:12], v[37:38], 0.5, v[41:42]
	v_fma_f64 v[3:4], v[3:4], s[0:1], v[64:65]
	v_add_f64 v[84:85], v[1:2], v[9:10]
	v_add_f64 v[86:87], v[15:16], -v[35:36]
	v_add_f64 v[88:89], v[29:30], v[15:16]
	v_add_f64 v[15:16], v[15:16], v[35:36]
	v_fma_f64 v[37:38], v[62:63], s[4:5], v[68:69]
	v_fma_f64 v[62:63], v[96:97], s[4:5], v[54:55]
	v_add_f64 v[43:44], v[82:83], v[9:10]
	v_add_f64 v[82:83], v[33:34], v[19:20]
	v_add_f64 v[19:20], v[33:34], -v[19:20]
	v_fma_f64 v[33:34], v[58:59], 0.5, v[66:67]
	v_fma_f64 v[58:59], v[92:93], s[4:5], v[52:53]
	v_add_f64 v[64:65], v[17:18], v[11:12]
	v_add_f64 v[11:12], v[17:18], -v[11:12]
	v_fma_f64 v[17:18], v[92:93], s[0:1], v[52:53]
	v_add_f64 v[66:67], v[25:26], v[3:4]
	v_add_f64 v[3:4], v[25:26], -v[3:4]
	v_fma_f64 v[25:26], v[96:97], s[0:1], v[54:55]
	v_fma_f64 v[23:24], v[84:85], -0.5, v[23:24]
	v_fma_f64 v[15:16], v[15:16], -0.5, v[29:30]
	v_add_f64 v[1:2], v[1:2], -v[9:10]
	v_add_f64 v[5:6], v[31:32], v[5:6]
	v_mul_f64 v[29:30], v[62:63], s[0:1]
	v_mul_f64 v[31:32], v[58:59], -0.5
	v_add_f64 v[9:10], v[88:89], v[35:36]
	v_add_f64 v[21:22], v[56:57], v[21:22]
	v_mul_f64 v[35:36], v[17:18], s[4:5]
	v_mul_f64 v[52:53], v[25:26], -0.5
	v_fma_f64 v[41:42], v[86:87], s[0:1], v[23:24]
	v_fma_f64 v[54:55], v[1:2], s[4:5], v[15:16]
	;; [unrolled: 1-line block ×3, first 2 shown]
	v_add_f64 v[5:6], v[5:6], v[27:28]
	v_fma_f64 v[15:16], v[17:18], 0.5, v[29:30]
	v_fma_f64 v[23:24], v[86:87], s[4:5], v[23:24]
	v_fma_f64 v[17:18], v[25:26], s[0:1], v[31:32]
	v_add_f64 v[21:22], v[21:22], v[39:40]
	v_fma_f64 v[25:26], v[62:63], 0.5, v[35:36]
	v_fma_f64 v[27:28], v[58:59], s[4:5], v[52:53]
	s_mov_b32 s0, 0x1861862
	v_mul_hi_u32 v0, v0, s0
	v_add_f64 v[68:69], v[60:61], v[33:34]
	v_add_f64 v[29:30], v[60:61], -v[33:34]
	v_add_f64 v[31:32], v[43:44], v[5:6]
	v_add_f64 v[33:34], v[41:42], v[15:16]
	;; [unrolled: 1-line block ×3, first 2 shown]
	v_add_f64 v[5:6], v[43:44], -v[5:6]
	v_add_f64 v[15:16], v[41:42], -v[15:16]
	;; [unrolled: 1-line block ×3, first 2 shown]
	v_add_f64 v[84:85], v[13:14], v[37:38]
	s_movk_i32 s0, 0x54
	v_add_f64 v[13:14], v[13:14], -v[37:38]
	v_mad_u32_u24 v0, v0, s0, v114
	v_add_f64 v[37:38], v[9:10], v[21:22]
	v_add_f64 v[39:40], v[54:55], v[25:26]
	v_mul_i32_i24_e32 v0, 0x60, v0
	v_add_f64 v[52:53], v[1:2], v[27:28]
	v_add_f64 v[21:22], v[9:10], -v[21:22]
	v_add_f64 v[23:24], v[54:55], -v[25:26]
	;; [unrolled: 1-line block ×3, first 2 shown]
	v_add3_u32 v27, 0, v0, v79
	v_mad_u32_u24 v0, v115, s0, v116
	v_add_u32_e32 v41, 0x1400, v27
	v_mul_i32_i24_e32 v0, 0x60, v0
	v_add_u32_e32 v28, 0x800, v27
	ds_write2_b64 v41, v[11:12], v[3:4] offset0:32 offset1:200
	v_add3_u32 v12, 0, v0, v79
	ds_write2_b64 v27, v[80:81], v[64:65] offset1:168
	ds_write2_b64 v28, v[66:67], v[7:8] offset0:80 offset1:248
	ds_write2_b64 v12, v[31:32], v[33:34] offset1:168
	v_add_u32_e32 v31, 0x800, v12
	v_add_u32_e32 v32, 0x1400, v12
	;; [unrolled: 1-line block ×4, first 2 shown]
	v_mul_u32_u24_e32 v8, 0x60, v77
	v_add_u32_e32 v44, 0x3400, v78
	ds_write2_b64 v31, v[35:36], v[5:6] offset0:80 offset1:248
	ds_write2_b64 v32, v[15:16], v[17:18] offset0:32 offset1:200
	s_waitcnt lgkmcnt(0)
	s_barrier
	ds_read2_b64 v[0:3], v42 offset0:48 offset1:216
	ds_read_b64 v[60:61], v78
	ds_read_b64 v[62:63], v46
	ds_read2_b64 v[4:7], v43 offset0:64 offset1:232
	v_add3_u32 v48, 0, v8, v79
	ds_read_b64 v[64:65], v47
	ds_read_b64 v[66:67], v45
	ds_read2_b64 v[8:11], v44 offset0:16 offset1:184
	ds_read_b64 v[79:80], v48
	ds_read_b64 v[86:87], v48 offset:2688
	s_waitcnt lgkmcnt(0)
	s_barrier
	ds_write2_b64 v27, v[82:83], v[68:69] offset1:168
	ds_write2_b64 v28, v[84:85], v[19:20] offset0:80 offset1:248
	ds_write2_b64 v41, v[29:30], v[13:14] offset0:32 offset1:200
	ds_write2_b64 v12, v[37:38], v[39:40] offset1:168
	ds_write2_b64 v31, v[52:53], v[21:22] offset0:80 offset1:248
	ds_write2_b64 v32, v[23:24], v[25:26] offset0:32 offset1:200
	v_lshlrev_b32_e32 v20, 4, v70
	s_waitcnt lgkmcnt(0)
	s_barrier
	v_lshlrev_b32_e32 v21, 4, v72
	s_mov_b32 s1, 0x30c30c4
	global_load_dwordx4 v[12:15], v20, s[16:17] offset:1312
	global_load_dwordx4 v[16:19], v21, s[16:17] offset:1312
	v_mul_hi_u32 v37, v77, s1
	v_lshlrev_b32_e32 v20, 4, v74
	global_load_dwordx4 v[20:23], v20, s[16:17] offset:1312
	v_mul_hi_u32 v38, v76, s1
	v_mul_u32_u24_e32 v24, 0x54, v37
	v_sub_u32_e32 v112, v77, v24
	v_lshlrev_b32_e32 v24, 4, v112
	global_load_dwordx4 v[24:27], v24, s[16:17] offset:1312
	v_mul_hi_u32 v36, v75, s1
	v_mul_u32_u24_e32 v28, 0x54, v38
	v_sub_u32_e32 v41, v76, v28
	v_lshlrev_b32_e32 v28, 4, v41
	v_mul_u32_u24_e32 v29, 0x54, v36
	v_sub_u32_e32 v39, v75, v29
	global_load_dwordx4 v[28:31], v28, s[16:17] offset:1312
	v_lshlrev_b32_e32 v32, 4, v39
	global_load_dwordx4 v[32:35], v32, s[16:17] offset:1312
	ds_read2_b64 v[52:55], v42 offset0:48 offset1:216
	ds_read_b64 v[68:69], v78
	ds_read_b64 v[81:82], v46
	ds_read2_b64 v[56:59], v43 offset0:64 offset1:232
	ds_read_b64 v[46:47], v47
	ds_read_b64 v[83:84], v45
	ds_read2_b64 v[42:45], v44 offset0:16 offset1:184
	ds_read_b64 v[94:95], v48
	ds_read_b64 v[96:97], v48 offset:2688
	s_add_i32 s1, 0, 0x3f00
	v_mul_lo_u32 v40, v51, s0
	v_mul_lo_u32 v48, v72, v51
	;; [unrolled: 1-line block ×5, first 2 shown]
	s_waitcnt vmcnt(5) lgkmcnt(8)
	v_mul_f64 v[88:89], v[52:53], v[14:15]
	v_mul_f64 v[14:15], v[0:1], v[14:15]
	s_waitcnt vmcnt(4)
	v_mul_f64 v[90:91], v[54:55], v[18:19]
	v_mul_f64 v[18:19], v[2:3], v[18:19]
	s_waitcnt vmcnt(3) lgkmcnt(5)
	v_mul_f64 v[92:93], v[56:57], v[22:23]
	v_mul_f64 v[22:23], v[4:5], v[22:23]
	v_fma_f64 v[0:1], v[0:1], v[12:13], -v[88:89]
	v_fma_f64 v[12:13], v[52:53], v[12:13], v[14:15]
	s_waitcnt vmcnt(2)
	v_mul_f64 v[98:99], v[58:59], v[26:27]
	v_fma_f64 v[14:15], v[54:55], v[16:17], v[18:19]
	v_mul_f64 v[18:19], v[6:7], v[26:27]
	v_fma_f64 v[2:3], v[2:3], v[16:17], -v[90:91]
	v_fma_f64 v[16:17], v[56:57], v[20:21], v[22:23]
	v_fma_f64 v[4:5], v[4:5], v[20:21], -v[92:93]
	s_waitcnt vmcnt(1)
	v_mul_f64 v[22:23], v[8:9], v[30:31]
	s_waitcnt lgkmcnt(2)
	v_mul_f64 v[20:21], v[42:43], v[30:31]
	v_add_f64 v[88:89], v[60:61], -v[0:1]
	v_fma_f64 v[6:7], v[6:7], v[24:25], -v[98:99]
	v_fma_f64 v[0:1], v[58:59], v[24:25], v[18:19]
	s_waitcnt vmcnt(0)
	v_mul_f64 v[26:27], v[44:45], v[34:35]
	v_add_f64 v[90:91], v[68:69], -v[12:13]
	v_mul_f64 v[30:31], v[10:11], v[34:35]
	v_fma_f64 v[12:13], v[42:43], v[28:29], v[22:23]
	v_mul_lo_u32 v22, v70, v51
	v_fma_f64 v[8:9], v[8:9], v[28:29], -v[20:21]
	v_add_f64 v[24:25], v[62:63], -v[4:5]
	s_waitcnt lgkmcnt(1)
	v_add_f64 v[28:29], v[94:95], -v[0:1]
	v_lshrrev_b32_e32 v1, 2, v22
	v_and_b32_e32 v0, 63, v22
	v_and_b32_e32 v1, 0x3f0, v1
	v_lshl_add_u32 v0, v0, 4, 0
	v_add_u32_e32 v4, s1, v1
	v_add_f64 v[92:93], v[64:65], -v[2:3]
	v_fma_f64 v[10:11], v[10:11], v[32:33], -v[26:27]
	v_add_f64 v[26:27], v[79:80], -v[6:7]
	ds_read_b128 v[0:3], v0 offset:16128
	ds_read_b128 v[4:7], v4 offset:1024
	v_add_f64 v[102:103], v[46:47], -v[14:15]
	v_fma_f64 v[18:19], v[44:45], v[32:33], v[30:31]
	v_add_f64 v[14:15], v[83:84], -v[12:13]
	v_lshrrev_b32_e32 v23, 2, v48
	s_waitcnt lgkmcnt(0)
	v_mul_f64 v[20:21], v[2:3], v[6:7]
	v_mul_f64 v[6:7], v[0:1], v[6:7]
	v_and_b32_e32 v23, 0x3f0, v23
	v_fma_f64 v[98:99], v[60:61], 2.0, -v[88:89]
	v_fma_f64 v[106:107], v[46:47], 2.0, -v[102:103]
	v_add_f64 v[12:13], v[96:97], -v[18:19]
	v_fma_f64 v[108:109], v[62:63], 2.0, -v[24:25]
	v_add_u32_e32 v23, s1, v23
	v_fma_f64 v[46:47], v[0:1], v[4:5], -v[20:21]
	v_add_u32_e32 v20, v22, v40
	v_lshrrev_b32_e32 v0, 8, v22
	v_lshrrev_b32_e32 v21, 2, v20
	v_fma_f64 v[18:19], v[2:3], v[4:5], v[6:7]
	v_and_b32_e32 v0, 0x3f0, v0
	v_and_b32_e32 v4, 63, v20
	;; [unrolled: 1-line block ×3, first 2 shown]
	v_add_u32_e32 v0, s1, v0
	v_lshl_add_u32 v4, v4, 4, 0
	v_add_u32_e32 v21, s1, v21
	ds_read_b128 v[0:3], v0 offset:2048
	ds_read_b128 v[4:7], v4 offset:16128
	;; [unrolled: 1-line block ×3, first 2 shown]
	v_lshrrev_b32_e32 v20, 8, v20
	v_and_b32_e32 v20, 0x3f0, v20
	v_add_u32_e32 v20, s1, v20
	ds_read_b128 v[52:55], v20 offset:2048
	s_waitcnt lgkmcnt(1)
	v_mul_f64 v[20:21], v[6:7], v[44:45]
	v_and_b32_e32 v22, 63, v48
	v_lshl_add_u32 v22, v22, 4, 0
	ds_read_b128 v[56:59], v22 offset:16128
	ds_read_b128 v[60:63], v23 offset:1024
	v_fma_f64 v[104:105], v[64:65], 2.0, -v[92:93]
	v_fma_f64 v[32:33], v[79:80], 2.0, -v[26:27]
	v_mul_f64 v[64:65], v[18:19], v[2:3]
	v_mul_f64 v[2:3], v[46:47], v[2:3]
	;; [unrolled: 1-line block ×3, first 2 shown]
	v_fma_f64 v[78:79], v[4:5], v[42:43], -v[20:21]
	s_waitcnt lgkmcnt(0)
	v_mul_f64 v[4:5], v[58:59], v[62:63]
	v_add_f64 v[30:31], v[81:82], -v[16:17]
	v_add_f64 v[8:9], v[66:67], -v[8:9]
	;; [unrolled: 1-line block ×3, first 2 shown]
	v_fma_f64 v[100:101], v[68:69], 2.0, -v[90:91]
	v_fma_f64 v[2:3], v[0:1], v[18:19], v[2:3]
	v_fma_f64 v[18:19], v[83:84], 2.0, -v[14:15]
	v_fma_f64 v[46:47], v[0:1], v[46:47], -v[64:65]
	v_fma_f64 v[84:85], v[56:57], v[60:61], -v[4:5]
	v_lshrrev_b32_e32 v4, 8, v48
	v_add_u32_e32 v48, v48, v40
	v_mul_f64 v[56:57], v[56:57], v[62:63]
	v_lshrrev_b32_e32 v62, 2, v48
	v_and_b32_e32 v4, 0x3f0, v4
	v_and_b32_e32 v5, 63, v48
	;; [unrolled: 1-line block ×3, first 2 shown]
	v_add_u32_e32 v4, s1, v4
	v_lshl_add_u32 v5, v5, 4, 0
	v_add_u32_e32 v62, s1, v62
	v_fma_f64 v[110:111], v[81:82], 2.0, -v[30:31]
	v_fma_f64 v[80:81], v[6:7], v[42:43], v[44:45]
	ds_read_b128 v[42:45], v4 offset:2048
	ds_read_b128 v[4:7], v5 offset:16128
	;; [unrolled: 1-line block ×3, first 2 shown]
	v_lshrrev_b32_e32 v48, 8, v48
	v_and_b32_e32 v48, 0x3f0, v48
	v_add_u32_e32 v48, s1, v48
	v_fma_f64 v[16:17], v[66:67], 2.0, -v[8:9]
	ds_read_b128 v[66:69], v48 offset:2048
	v_fma_f64 v[20:21], v[86:87], 2.0, -v[10:11]
	v_mul_f64 v[82:83], v[78:79], v[54:55]
	s_waitcnt lgkmcnt(1)
	v_mul_f64 v[86:87], v[6:7], v[64:65]
	v_mul_f64 v[0:1], v[100:101], v[2:3]
	;; [unrolled: 1-line block ×4, first 2 shown]
	v_fma_f64 v[56:57], v[58:59], v[60:61], v[56:57]
	v_mul_f64 v[58:59], v[4:5], v[64:65]
	v_mul_lo_u32 v48, v74, v51
	v_fma_f64 v[80:81], v[52:53], v[80:81], v[82:83]
	v_fma_f64 v[60:61], v[4:5], v[62:63], -v[86:87]
	v_fma_f64 v[0:1], v[98:99], v[46:47], -v[0:1]
	v_fma_f64 v[2:3], v[100:101], v[46:47], v[2:3]
	v_mul_f64 v[46:47], v[84:85], v[44:45]
	v_fma_f64 v[64:65], v[52:53], v[78:79], -v[54:55]
	v_fma_f64 v[6:7], v[6:7], v[62:63], v[58:59]
	v_fma_f64 v[34:35], v[94:95], 2.0, -v[28:29]
	v_mul_f64 v[4:5], v[90:91], v[80:81]
	v_mul_f64 v[78:79], v[88:89], v[80:81]
	;; [unrolled: 1-line block ×3, first 2 shown]
	s_waitcnt lgkmcnt(0)
	v_mul_f64 v[58:59], v[60:61], v[68:69]
	v_lshrrev_b32_e32 v45, 2, v48
	v_and_b32_e32 v44, 63, v48
	v_and_b32_e32 v45, 0x3f0, v45
	v_lshl_add_u32 v44, v44, 4, 0
	v_add_u32_e32 v52, s1, v45
	v_fma_f64 v[56:57], v[42:43], v[56:57], v[46:47]
	ds_read_b128 v[44:47], v44 offset:16128
	ds_read_b128 v[52:55], v52 offset:1024
	v_fma_f64 v[4:5], v[88:89], v[64:65], -v[4:5]
	v_mul_f64 v[62:63], v[6:7], v[68:69]
	v_fma_f64 v[58:59], v[66:67], v[6:7], v[58:59]
	v_fma_f64 v[6:7], v[90:91], v[64:65], v[78:79]
	s_waitcnt lgkmcnt(0)
	v_mul_f64 v[64:65], v[46:47], v[54:55]
	v_mul_f64 v[54:55], v[44:45], v[54:55]
	v_fma_f64 v[68:69], v[42:43], v[84:85], -v[80:81]
	v_lshrrev_b32_e32 v42, 8, v48
	v_and_b32_e32 v42, 0x3f0, v42
	v_add_u32_e32 v42, s1, v42
	v_add_u32_e32 v48, v48, v40
	v_fma_f64 v[22:23], v[96:97], 2.0, -v[12:13]
	v_fma_f64 v[88:89], v[44:45], v[52:53], -v[64:65]
	v_fma_f64 v[90:91], v[46:47], v[52:53], v[54:55]
	ds_read_b128 v[42:45], v42 offset:2048
	v_and_b32_e32 v46, 63, v48
	v_lshl_add_u32 v46, v46, 4, 0
	ds_read_b128 v[52:55], v46 offset:16128
	v_mul_f64 v[78:79], v[106:107], v[56:57]
	v_mul_f64 v[80:81], v[104:105], v[56:57]
	s_waitcnt lgkmcnt(1)
	v_mul_f64 v[96:97], v[88:89], v[44:45]
	v_mul_f64 v[94:95], v[90:91], v[44:45]
	v_lshrrev_b32_e32 v44, 2, v48
	v_lshrrev_b32_e32 v57, 2, v112
	v_and_b32_e32 v44, 0x3f0, v44
	v_and_b32_e32 v56, 63, v112
	;; [unrolled: 1-line block ×3, first 2 shown]
	v_fma_f64 v[84:85], v[66:67], v[60:61], -v[62:63]
	v_add_u32_e32 v44, s1, v44
	v_lshl_add_u32 v56, v56, 4, 0
	v_add_u32_e32 v60, s1, v57
	v_mul_f64 v[82:83], v[102:103], v[58:59]
	v_mul_f64 v[86:87], v[92:93], v[58:59]
	ds_read_b128 v[44:47], v44 offset:1024
	ds_read_b128 v[56:59], v56 offset:16128
	;; [unrolled: 1-line block ×3, first 2 shown]
	v_lshrrev_b32_e32 v48, 8, v48
	v_and_b32_e32 v48, 0x3f0, v48
	v_add_u32_e32 v48, s1, v48
	s_waitcnt lgkmcnt(2)
	v_mul_f64 v[98:99], v[54:55], v[46:47]
	s_waitcnt lgkmcnt(0)
	v_mul_f64 v[100:101], v[58:59], v[62:63]
	ds_read_b128 v[64:67], v48 offset:2048
	v_lshrrev_b32_e32 v48, 8, v112
	v_fma_f64 v[82:83], v[92:93], v[84:85], -v[82:83]
	v_fma_f64 v[84:85], v[102:103], v[84:85], v[86:87]
	v_mul_f64 v[46:47], v[52:53], v[46:47]
	v_and_b32_e32 v48, 0x3f0, v48
	v_fma_f64 v[102:103], v[52:53], v[44:45], -v[98:99]
	v_fma_f64 v[52:53], v[56:57], v[60:61], -v[100:101]
	v_mul_f64 v[56:57], v[56:57], v[62:63]
	v_add_u32_e32 v62, v112, v40
	v_add_u32_e32 v48, s1, v48
	v_and_b32_e32 v63, 63, v62
	v_fma_f64 v[78:79], v[104:105], v[68:69], -v[78:79]
	v_fma_f64 v[80:81], v[106:107], v[68:69], v[80:81]
	v_fma_f64 v[68:69], v[42:43], v[88:89], -v[94:95]
	v_fma_f64 v[42:43], v[42:43], v[90:91], v[96:97]
	v_lshl_add_u32 v63, v63, 4, 0
	ds_read_b128 v[86:89], v48 offset:2048
	ds_read_b128 v[90:93], v63 offset:16128
	v_lshrrev_b32_e32 v48, 2, v62
	v_and_b32_e32 v48, 0x3f0, v48
	v_add_u32_e32 v48, s1, v48
	ds_read_b128 v[94:97], v48 offset:1024
	v_lshrrev_b32_e32 v48, 8, v62
	v_fma_f64 v[44:45], v[54:55], v[44:45], v[46:47]
	s_waitcnt lgkmcnt(3)
	v_mul_f64 v[46:47], v[102:103], v[66:67]
	v_mul_f64 v[54:55], v[110:111], v[42:43]
	s_waitcnt lgkmcnt(0)
	v_mul_f64 v[62:63], v[92:93], v[96:97]
	v_fma_f64 v[56:57], v[58:59], v[60:61], v[56:57]
	v_mul_f64 v[58:59], v[108:109], v[42:43]
	v_mul_f64 v[60:61], v[52:53], v[88:89]
	;; [unrolled: 1-line block ×3, first 2 shown]
	v_and_b32_e32 v48, 0x3f0, v48
	v_add_u32_e32 v48, s1, v48
	ds_read_b128 v[98:101], v48 offset:2048
	v_fma_f64 v[62:63], v[90:91], v[94:95], -v[62:63]
	v_mul_f64 v[66:67], v[44:45], v[66:67]
	v_fma_f64 v[46:47], v[64:65], v[44:45], v[46:47]
	v_fma_f64 v[42:43], v[108:109], v[68:69], -v[54:55]
	v_mul_f64 v[54:55], v[56:57], v[88:89]
	v_fma_f64 v[44:45], v[110:111], v[68:69], v[58:59]
	v_fma_f64 v[60:61], v[86:87], v[56:57], v[60:61]
	;; [unrolled: 1-line block ×3, first 2 shown]
	s_waitcnt lgkmcnt(0)
	v_mul_f64 v[58:59], v[62:63], v[100:101]
	v_and_b32_e32 v48, 63, v41
	v_lshl_add_u32 v48, v48, 4, 0
	v_fma_f64 v[64:65], v[64:65], v[102:103], -v[66:67]
	v_fma_f64 v[68:69], v[86:87], v[52:53], -v[54:55]
	v_lshrrev_b32_e32 v52, 2, v41
	v_and_b32_e32 v52, 0x3f0, v52
	v_mul_f64 v[88:89], v[56:57], v[100:101]
	v_fma_f64 v[90:91], v[98:99], v[56:57], v[58:59]
	v_add_u32_e32 v56, s1, v52
	ds_read_b128 v[52:55], v48 offset:16128
	ds_read_b128 v[56:59], v56 offset:1024
	v_mul_f64 v[66:67], v[30:31], v[46:47]
	v_mul_f64 v[46:47], v[24:25], v[46:47]
	;; [unrolled: 1-line block ×4, first 2 shown]
	v_fma_f64 v[62:63], v[98:99], v[62:63], -v[88:89]
	v_mul_f64 v[88:89], v[28:29], v[90:91]
	v_mul_f64 v[90:91], v[26:27], v[90:91]
	s_waitcnt lgkmcnt(0)
	v_mul_f64 v[94:95], v[54:55], v[58:59]
	v_mul_f64 v[96:97], v[52:53], v[58:59]
	v_fma_f64 v[60:61], v[30:31], v[64:65], v[46:47]
	v_lshrrev_b32_e32 v46, 8, v41
	v_and_b32_e32 v46, 0x3f0, v46
	v_add_u32_e32 v41, v41, v40
	v_add_u32_e32 v46, s1, v46
	v_and_b32_e32 v47, 63, v41
	v_fma_f64 v[58:59], v[24:25], v[64:65], -v[66:67]
	v_fma_f64 v[30:31], v[32:33], v[68:69], -v[86:87]
	v_fma_f64 v[32:33], v[34:35], v[68:69], v[92:93]
	v_fma_f64 v[24:25], v[26:27], v[62:63], -v[88:89]
	v_fma_f64 v[26:27], v[28:29], v[62:63], v[90:91]
	;; [unrolled: 2-line block ×3, first 2 shown]
	v_lshl_add_u32 v47, v47, 4, 0
	ds_read_b128 v[52:55], v46 offset:2048
	ds_read_b128 v[62:65], v47 offset:16128
	v_lshrrev_b32_e32 v46, 2, v41
	v_and_b32_e32 v46, 0x3f0, v46
	v_add_u32_e32 v46, s1, v46
	v_lshrrev_b32_e32 v41, 8, v41
	ds_read_b128 v[66:69], v46 offset:1024
	v_and_b32_e32 v46, 63, v39
	v_lshrrev_b32_e32 v47, 2, v39
	v_and_b32_e32 v41, 0x3f0, v41
	v_lshl_add_u32 v46, v46, 4, 0
	v_and_b32_e32 v47, 0x3f0, v47
	v_add_u32_e32 v41, s1, v41
	v_add_u32_e32 v47, s1, v47
	ds_read_b128 v[86:89], v46 offset:16128
	ds_read_b128 v[90:93], v47 offset:1024
	;; [unrolled: 1-line block ×3, first 2 shown]
	v_lshrrev_b32_e32 v41, 8, v39
	v_add_u32_e32 v39, v39, v40
	v_and_b32_e32 v41, 0x3f0, v41
	v_and_b32_e32 v40, 63, v39
	v_add_u32_e32 v41, s1, v41
	v_lshl_add_u32 v40, v40, 4, 0
	ds_read_b128 v[98:101], v41 offset:2048
	ds_read_b128 v[102:105], v40 offset:16128
	v_lshrrev_b32_e32 v40, 2, v39
	v_and_b32_e32 v40, 0x3f0, v40
	v_add_u32_e32 v40, s1, v40
	ds_read_b128 v[106:109], v40 offset:1024
	v_lshrrev_b32_e32 v39, 8, v39
	v_and_b32_e32 v39, 0x3f0, v39
	v_add_u32_e32 v39, s1, v39
	ds_read_b128 v[110:113], v39 offset:2048
	s_waitcnt lgkmcnt(7)
	v_mul_f64 v[46:47], v[64:65], v[68:69]
	s_waitcnt lgkmcnt(5)
	v_mul_f64 v[56:57], v[88:89], v[92:93]
	;; [unrolled: 2-line block ×3, first 2 shown]
	v_mul_f64 v[68:69], v[62:63], v[68:69]
	v_mul_f64 v[92:93], v[86:87], v[92:93]
	v_fma_f64 v[46:47], v[62:63], v[66:67], -v[46:47]
	v_mul_f64 v[62:63], v[28:29], v[54:55]
	v_fma_f64 v[56:57], v[86:87], v[90:91], -v[56:57]
	v_mul_f64 v[54:55], v[34:35], v[54:55]
	v_mul_f64 v[86:87], v[102:103], v[108:109]
	v_fma_f64 v[39:40], v[102:103], v[106:107], -v[39:40]
	v_fma_f64 v[64:65], v[64:65], v[66:67], v[68:69]
	v_mul_f64 v[66:67], v[46:47], v[96:97]
	v_fma_f64 v[34:35], v[52:53], v[34:35], v[62:63]
	v_fma_f64 v[62:63], v[88:89], v[90:91], v[92:93]
	v_mul_f64 v[68:69], v[56:57], v[100:101]
	v_fma_f64 v[28:29], v[52:53], v[28:29], -v[54:55]
	v_fma_f64 v[51:52], v[104:105], v[106:107], v[86:87]
	s_waitcnt lgkmcnt(0)
	v_mul_f64 v[53:54], v[39:40], v[112:113]
	v_mul_f64 v[86:87], v[64:65], v[96:97]
	v_fma_f64 v[64:65], v[94:95], v[64:65], v[66:67]
	v_mul_f64 v[66:67], v[18:19], v[34:35]
	v_mul_f64 v[88:89], v[62:63], v[100:101]
	v_fma_f64 v[62:63], v[98:99], v[62:63], v[68:69]
	;; [unrolled: 3-line block ×3, first 2 shown]
	v_fma_f64 v[46:47], v[94:95], v[46:47], -v[86:87]
	v_mul_f64 v[53:54], v[14:15], v[64:65]
	v_mul_f64 v[64:65], v[8:9], v[64:65]
	v_fma_f64 v[55:56], v[98:99], v[56:57], -v[88:89]
	v_mul_f64 v[86:87], v[22:23], v[62:63]
	v_mul_f64 v[62:63], v[20:21], v[62:63]
	v_fma_f64 v[39:40], v[110:111], v[39:40], -v[68:69]
	v_mul_f64 v[68:69], v[12:13], v[51:52]
	v_mul_f64 v[88:89], v[10:11], v[51:52]
	v_fma_f64 v[51:52], v[8:9], v[46:47], -v[53:54]
	v_fma_f64 v[16:17], v[16:17], v[28:29], -v[66:67]
	v_fma_f64 v[18:19], v[18:19], v[28:29], v[34:35]
	v_fma_f64 v[53:54], v[14:15], v[46:47], v[64:65]
	v_fma_f64 v[20:21], v[20:21], v[55:56], -v[86:87]
	v_fma_f64 v[22:23], v[22:23], v[55:56], v[62:63]
	v_fma_f64 v[8:9], v[10:11], v[39:40], -v[68:69]
	v_fma_f64 v[10:11], v[12:13], v[39:40], v[88:89]
	v_add_u32_e32 v13, 0x54, v70
	v_mul_lo_u32 v13, s2, v13
	v_add_lshl_u32 v12, v49, v50, 4
	v_cndmask_b32_e32 v12, -1, v12, vcc
	buffer_store_dwordx4 v[0:3], v12, s[8:11], s3 offen
	v_add_lshl_u32 v0, v49, v13, 4
	v_cndmask_b32_e32 v0, -1, v0, vcc
	buffer_store_dwordx4 v[4:7], v0, s[8:11], s3 offen
	v_add_u32_e32 v0, 0x54, v72
	v_mul_lo_u32 v0, s2, v0
	v_add_lshl_u32 v1, v49, v71, 4
	v_cndmask_b32_e32 v1, -1, v1, vcc
	buffer_store_dwordx4 v[78:81], v1, s[8:11], s3 offen
	v_add_lshl_u32 v0, v49, v0, 4
	v_cndmask_b32_e32 v0, -1, v0, vcc
	buffer_store_dwordx4 v[82:85], v0, s[8:11], s3 offen
	v_add_u32_e32 v0, 0x54, v74
	v_mul_lo_u32 v0, s2, v0
	v_add_lshl_u32 v1, v49, v73, 4
	v_cndmask_b32_e32 v1, -1, v1, vcc
	buffer_store_dwordx4 v[42:45], v1, s[8:11], s3 offen
	v_add_lshl_u32 v0, v49, v0, 4
	v_cndmask_b32_e32 v0, -1, v0, vcc
	v_mad_u32_u24 v1, v37, s0, v77
	v_mul_lo_u32 v2, s2, v1
	buffer_store_dwordx4 v[58:61], v0, s[8:11], s3 offen
	v_add_u32_e32 v0, 0x54, v1
	v_mul_lo_u32 v0, s2, v0
	v_add_lshl_u32 v1, v49, v2, 4
	v_cndmask_b32_e32 v1, -1, v1, vcc
	buffer_store_dwordx4 v[30:33], v1, s[8:11], s3 offen
	v_add_lshl_u32 v0, v49, v0, 4
	v_cndmask_b32_e32 v0, -1, v0, vcc
	v_mad_u32_u24 v1, v38, s0, v76
	v_mul_lo_u32 v2, s2, v1
	buffer_store_dwordx4 v[24:27], v0, s[8:11], s3 offen
	v_add_u32_e32 v0, 0x54, v1
	v_mul_lo_u32 v0, s2, v0
	v_add_lshl_u32 v1, v49, v2, 4
	v_cndmask_b32_e32 v1, -1, v1, vcc
	buffer_store_dwordx4 v[16:19], v1, s[8:11], s3 offen
	v_add_lshl_u32 v0, v49, v0, 4
	v_cndmask_b32_e32 v0, -1, v0, vcc
	v_mad_u32_u24 v1, v36, s0, v75
	buffer_store_dwordx4 v[51:54], v0, s[8:11], s3 offen
	v_add_u32_e32 v0, 0x54, v1
	v_mul_lo_u32 v2, s2, v1
	v_mul_lo_u32 v0, s2, v0
	v_add_lshl_u32 v1, v49, v2, 4
	v_add_lshl_u32 v0, v49, v0, 4
	v_cndmask_b32_e32 v1, -1, v1, vcc
	v_cndmask_b32_e32 v0, -1, v0, vcc
	buffer_store_dwordx4 v[20:23], v1, s[8:11], s3 offen
	buffer_store_dwordx4 v[8:11], v0, s[8:11], s3 offen
	s_endpgm
	.section	.rodata,"a",@progbits
	.p2align	6, 0x0
	.amdhsa_kernel fft_rtc_fwd_len168_factors_2_7_6_2_wgs_168_tpt_14_halfLds_dim2_dp_ip_CI_sbcc_twdbase6_3step_dirReg_intrinsicReadWrite
		.amdhsa_group_segment_fixed_size 0
		.amdhsa_private_segment_fixed_size 0
		.amdhsa_kernarg_size 88
		.amdhsa_user_sgpr_count 6
		.amdhsa_user_sgpr_private_segment_buffer 1
		.amdhsa_user_sgpr_dispatch_ptr 0
		.amdhsa_user_sgpr_queue_ptr 0
		.amdhsa_user_sgpr_kernarg_segment_ptr 1
		.amdhsa_user_sgpr_dispatch_id 0
		.amdhsa_user_sgpr_flat_scratch_init 0
		.amdhsa_user_sgpr_private_segment_size 0
		.amdhsa_uses_dynamic_stack 0
		.amdhsa_system_sgpr_private_segment_wavefront_offset 0
		.amdhsa_system_sgpr_workgroup_id_x 1
		.amdhsa_system_sgpr_workgroup_id_y 0
		.amdhsa_system_sgpr_workgroup_id_z 0
		.amdhsa_system_sgpr_workgroup_info 0
		.amdhsa_system_vgpr_workitem_id 0
		.amdhsa_next_free_vgpr 117
		.amdhsa_next_free_sgpr 30
		.amdhsa_reserve_vcc 1
		.amdhsa_reserve_flat_scratch 0
		.amdhsa_float_round_mode_32 0
		.amdhsa_float_round_mode_16_64 0
		.amdhsa_float_denorm_mode_32 3
		.amdhsa_float_denorm_mode_16_64 3
		.amdhsa_dx10_clamp 1
		.amdhsa_ieee_mode 1
		.amdhsa_fp16_overflow 0
		.amdhsa_exception_fp_ieee_invalid_op 0
		.amdhsa_exception_fp_denorm_src 0
		.amdhsa_exception_fp_ieee_div_zero 0
		.amdhsa_exception_fp_ieee_overflow 0
		.amdhsa_exception_fp_ieee_underflow 0
		.amdhsa_exception_fp_ieee_inexact 0
		.amdhsa_exception_int_div_zero 0
	.end_amdhsa_kernel
	.text
.Lfunc_end0:
	.size	fft_rtc_fwd_len168_factors_2_7_6_2_wgs_168_tpt_14_halfLds_dim2_dp_ip_CI_sbcc_twdbase6_3step_dirReg_intrinsicReadWrite, .Lfunc_end0-fft_rtc_fwd_len168_factors_2_7_6_2_wgs_168_tpt_14_halfLds_dim2_dp_ip_CI_sbcc_twdbase6_3step_dirReg_intrinsicReadWrite
                                        ; -- End function
	.section	.AMDGPU.csdata,"",@progbits
; Kernel info:
; codeLenInByte = 9132
; NumSgprs: 34
; NumVgprs: 117
; ScratchSize: 0
; MemoryBound: 0
; FloatMode: 240
; IeeeMode: 1
; LDSByteSize: 0 bytes/workgroup (compile time only)
; SGPRBlocks: 4
; VGPRBlocks: 29
; NumSGPRsForWavesPerEU: 34
; NumVGPRsForWavesPerEU: 117
; Occupancy: 2
; WaveLimiterHint : 0
; COMPUTE_PGM_RSRC2:SCRATCH_EN: 0
; COMPUTE_PGM_RSRC2:USER_SGPR: 6
; COMPUTE_PGM_RSRC2:TRAP_HANDLER: 0
; COMPUTE_PGM_RSRC2:TGID_X_EN: 1
; COMPUTE_PGM_RSRC2:TGID_Y_EN: 0
; COMPUTE_PGM_RSRC2:TGID_Z_EN: 0
; COMPUTE_PGM_RSRC2:TIDIG_COMP_CNT: 0
	.type	__hip_cuid_1da0b3bb9a02f10d,@object ; @__hip_cuid_1da0b3bb9a02f10d
	.section	.bss,"aw",@nobits
	.globl	__hip_cuid_1da0b3bb9a02f10d
__hip_cuid_1da0b3bb9a02f10d:
	.byte	0                               ; 0x0
	.size	__hip_cuid_1da0b3bb9a02f10d, 1

	.ident	"AMD clang version 19.0.0git (https://github.com/RadeonOpenCompute/llvm-project roc-6.4.0 25133 c7fe45cf4b819c5991fe208aaa96edf142730f1d)"
	.section	".note.GNU-stack","",@progbits
	.addrsig
	.addrsig_sym __hip_cuid_1da0b3bb9a02f10d
	.amdgpu_metadata
---
amdhsa.kernels:
  - .args:
      - .actual_access:  read_only
        .address_space:  global
        .offset:         0
        .size:           8
        .value_kind:     global_buffer
      - .address_space:  global
        .offset:         8
        .size:           8
        .value_kind:     global_buffer
      - .actual_access:  read_only
        .address_space:  global
        .offset:         16
        .size:           8
        .value_kind:     global_buffer
      - .actual_access:  read_only
        .address_space:  global
        .offset:         24
        .size:           8
        .value_kind:     global_buffer
      - .offset:         32
        .size:           8
        .value_kind:     by_value
      - .actual_access:  read_only
        .address_space:  global
        .offset:         40
        .size:           8
        .value_kind:     global_buffer
      - .actual_access:  read_only
        .address_space:  global
        .offset:         48
        .size:           8
        .value_kind:     global_buffer
      - .offset:         56
        .size:           4
        .value_kind:     by_value
      - .actual_access:  read_only
        .address_space:  global
        .offset:         64
        .size:           8
        .value_kind:     global_buffer
      - .actual_access:  read_only
        .address_space:  global
        .offset:         72
        .size:           8
        .value_kind:     global_buffer
      - .address_space:  global
        .offset:         80
        .size:           8
        .value_kind:     global_buffer
    .group_segment_fixed_size: 0
    .kernarg_segment_align: 8
    .kernarg_segment_size: 88
    .language:       OpenCL C
    .language_version:
      - 2
      - 0
    .max_flat_workgroup_size: 168
    .name:           fft_rtc_fwd_len168_factors_2_7_6_2_wgs_168_tpt_14_halfLds_dim2_dp_ip_CI_sbcc_twdbase6_3step_dirReg_intrinsicReadWrite
    .private_segment_fixed_size: 0
    .sgpr_count:     34
    .sgpr_spill_count: 0
    .symbol:         fft_rtc_fwd_len168_factors_2_7_6_2_wgs_168_tpt_14_halfLds_dim2_dp_ip_CI_sbcc_twdbase6_3step_dirReg_intrinsicReadWrite.kd
    .uniform_work_group_size: 1
    .uses_dynamic_stack: false
    .vgpr_count:     117
    .vgpr_spill_count: 0
    .wavefront_size: 64
amdhsa.target:   amdgcn-amd-amdhsa--gfx906
amdhsa.version:
  - 1
  - 2
...

	.end_amdgpu_metadata
